;; amdgpu-corpus repo=ROCm/rocFFT kind=compiled arch=gfx906 opt=O3
	.text
	.amdgcn_target "amdgcn-amd-amdhsa--gfx906"
	.amdhsa_code_object_version 6
	.protected	fft_rtc_back_len1694_factors_11_2_11_7_wgs_154_tpt_154_halfLds_sp_ip_CI_unitstride_sbrr_dirReg ; -- Begin function fft_rtc_back_len1694_factors_11_2_11_7_wgs_154_tpt_154_halfLds_sp_ip_CI_unitstride_sbrr_dirReg
	.globl	fft_rtc_back_len1694_factors_11_2_11_7_wgs_154_tpt_154_halfLds_sp_ip_CI_unitstride_sbrr_dirReg
	.p2align	8
	.type	fft_rtc_back_len1694_factors_11_2_11_7_wgs_154_tpt_154_halfLds_sp_ip_CI_unitstride_sbrr_dirReg,@function
fft_rtc_back_len1694_factors_11_2_11_7_wgs_154_tpt_154_halfLds_sp_ip_CI_unitstride_sbrr_dirReg: ; @fft_rtc_back_len1694_factors_11_2_11_7_wgs_154_tpt_154_halfLds_sp_ip_CI_unitstride_sbrr_dirReg
; %bb.0:
	s_load_dwordx2 s[12:13], s[4:5], 0x50
	s_load_dwordx4 s[8:11], s[4:5], 0x0
	s_load_dwordx2 s[2:3], s[4:5], 0x18
	v_mul_u32_u24_e32 v1, 0x1aa, v0
	v_add_u32_sdwa v5, s6, v1 dst_sel:DWORD dst_unused:UNUSED_PAD src0_sel:DWORD src1_sel:WORD_1
	v_mov_b32_e32 v3, 0
	s_waitcnt lgkmcnt(0)
	v_cmp_lt_u64_e64 s[0:1], s[10:11], 2
	v_mov_b32_e32 v1, 0
	v_mov_b32_e32 v6, v3
	s_and_b64 vcc, exec, s[0:1]
	v_mov_b32_e32 v2, 0
	s_cbranch_vccnz .LBB0_8
; %bb.1:
	s_load_dwordx2 s[0:1], s[4:5], 0x10
	s_add_u32 s6, s2, 8
	s_addc_u32 s7, s3, 0
	v_mov_b32_e32 v1, 0
	v_mov_b32_e32 v2, 0
	s_waitcnt lgkmcnt(0)
	s_add_u32 s14, s0, 8
	s_addc_u32 s15, s1, 0
	s_mov_b64 s[16:17], 1
.LBB0_2:                                ; =>This Inner Loop Header: Depth=1
	s_load_dwordx2 s[18:19], s[14:15], 0x0
                                        ; implicit-def: $vgpr7_vgpr8
	s_waitcnt lgkmcnt(0)
	v_or_b32_e32 v4, s19, v6
	v_cmp_ne_u64_e32 vcc, 0, v[3:4]
	s_and_saveexec_b64 s[0:1], vcc
	s_xor_b64 s[20:21], exec, s[0:1]
	s_cbranch_execz .LBB0_4
; %bb.3:                                ;   in Loop: Header=BB0_2 Depth=1
	v_cvt_f32_u32_e32 v4, s18
	v_cvt_f32_u32_e32 v7, s19
	s_sub_u32 s0, 0, s18
	s_subb_u32 s1, 0, s19
	v_mac_f32_e32 v4, 0x4f800000, v7
	v_rcp_f32_e32 v4, v4
	v_mul_f32_e32 v4, 0x5f7ffffc, v4
	v_mul_f32_e32 v7, 0x2f800000, v4
	v_trunc_f32_e32 v7, v7
	v_mac_f32_e32 v4, 0xcf800000, v7
	v_cvt_u32_f32_e32 v7, v7
	v_cvt_u32_f32_e32 v4, v4
	v_mul_lo_u32 v8, s0, v7
	v_mul_hi_u32 v9, s0, v4
	v_mul_lo_u32 v11, s1, v4
	v_mul_lo_u32 v10, s0, v4
	v_add_u32_e32 v8, v9, v8
	v_add_u32_e32 v8, v8, v11
	v_mul_hi_u32 v9, v4, v10
	v_mul_lo_u32 v11, v4, v8
	v_mul_hi_u32 v13, v4, v8
	v_mul_hi_u32 v12, v7, v10
	v_mul_lo_u32 v10, v7, v10
	v_mul_hi_u32 v14, v7, v8
	v_add_co_u32_e32 v9, vcc, v9, v11
	v_addc_co_u32_e32 v11, vcc, 0, v13, vcc
	v_mul_lo_u32 v8, v7, v8
	v_add_co_u32_e32 v9, vcc, v9, v10
	v_addc_co_u32_e32 v9, vcc, v11, v12, vcc
	v_addc_co_u32_e32 v10, vcc, 0, v14, vcc
	v_add_co_u32_e32 v8, vcc, v9, v8
	v_addc_co_u32_e32 v9, vcc, 0, v10, vcc
	v_add_co_u32_e32 v4, vcc, v4, v8
	v_addc_co_u32_e32 v7, vcc, v7, v9, vcc
	v_mul_lo_u32 v8, s0, v7
	v_mul_hi_u32 v9, s0, v4
	v_mul_lo_u32 v10, s1, v4
	v_mul_lo_u32 v11, s0, v4
	v_add_u32_e32 v8, v9, v8
	v_add_u32_e32 v8, v8, v10
	v_mul_lo_u32 v12, v4, v8
	v_mul_hi_u32 v13, v4, v11
	v_mul_hi_u32 v14, v4, v8
	;; [unrolled: 1-line block ×3, first 2 shown]
	v_mul_lo_u32 v11, v7, v11
	v_mul_hi_u32 v9, v7, v8
	v_add_co_u32_e32 v12, vcc, v13, v12
	v_addc_co_u32_e32 v13, vcc, 0, v14, vcc
	v_mul_lo_u32 v8, v7, v8
	v_add_co_u32_e32 v11, vcc, v12, v11
	v_addc_co_u32_e32 v10, vcc, v13, v10, vcc
	v_addc_co_u32_e32 v9, vcc, 0, v9, vcc
	v_add_co_u32_e32 v8, vcc, v10, v8
	v_addc_co_u32_e32 v9, vcc, 0, v9, vcc
	v_add_co_u32_e32 v4, vcc, v4, v8
	v_addc_co_u32_e32 v9, vcc, v7, v9, vcc
	v_mad_u64_u32 v[7:8], s[0:1], v5, v9, 0
	v_mul_hi_u32 v10, v5, v4
	v_add_co_u32_e32 v11, vcc, v10, v7
	v_addc_co_u32_e32 v12, vcc, 0, v8, vcc
	v_mad_u64_u32 v[7:8], s[0:1], v6, v4, 0
	v_mad_u64_u32 v[9:10], s[0:1], v6, v9, 0
	v_add_co_u32_e32 v4, vcc, v11, v7
	v_addc_co_u32_e32 v4, vcc, v12, v8, vcc
	v_addc_co_u32_e32 v7, vcc, 0, v10, vcc
	v_add_co_u32_e32 v4, vcc, v4, v9
	v_addc_co_u32_e32 v9, vcc, 0, v7, vcc
	v_mul_lo_u32 v10, s19, v4
	v_mul_lo_u32 v11, s18, v9
	v_mad_u64_u32 v[7:8], s[0:1], s18, v4, 0
	v_add3_u32 v8, v8, v11, v10
	v_sub_u32_e32 v10, v6, v8
	v_mov_b32_e32 v11, s19
	v_sub_co_u32_e32 v7, vcc, v5, v7
	v_subb_co_u32_e64 v10, s[0:1], v10, v11, vcc
	v_subrev_co_u32_e64 v11, s[0:1], s18, v7
	v_subbrev_co_u32_e64 v10, s[0:1], 0, v10, s[0:1]
	v_cmp_le_u32_e64 s[0:1], s19, v10
	v_cndmask_b32_e64 v12, 0, -1, s[0:1]
	v_cmp_le_u32_e64 s[0:1], s18, v11
	v_cndmask_b32_e64 v11, 0, -1, s[0:1]
	v_cmp_eq_u32_e64 s[0:1], s19, v10
	v_cndmask_b32_e64 v10, v12, v11, s[0:1]
	v_add_co_u32_e64 v11, s[0:1], 2, v4
	v_addc_co_u32_e64 v12, s[0:1], 0, v9, s[0:1]
	v_add_co_u32_e64 v13, s[0:1], 1, v4
	v_addc_co_u32_e64 v14, s[0:1], 0, v9, s[0:1]
	v_subb_co_u32_e32 v8, vcc, v6, v8, vcc
	v_cmp_ne_u32_e64 s[0:1], 0, v10
	v_cmp_le_u32_e32 vcc, s19, v8
	v_cndmask_b32_e64 v10, v14, v12, s[0:1]
	v_cndmask_b32_e64 v12, 0, -1, vcc
	v_cmp_le_u32_e32 vcc, s18, v7
	v_cndmask_b32_e64 v7, 0, -1, vcc
	v_cmp_eq_u32_e32 vcc, s19, v8
	v_cndmask_b32_e32 v7, v12, v7, vcc
	v_cmp_ne_u32_e32 vcc, 0, v7
	v_cndmask_b32_e64 v7, v13, v11, s[0:1]
	v_cndmask_b32_e32 v8, v9, v10, vcc
	v_cndmask_b32_e32 v7, v4, v7, vcc
.LBB0_4:                                ;   in Loop: Header=BB0_2 Depth=1
	s_andn2_saveexec_b64 s[0:1], s[20:21]
	s_cbranch_execz .LBB0_6
; %bb.5:                                ;   in Loop: Header=BB0_2 Depth=1
	v_cvt_f32_u32_e32 v4, s18
	s_sub_i32 s20, 0, s18
	v_rcp_iflag_f32_e32 v4, v4
	v_mul_f32_e32 v4, 0x4f7ffffe, v4
	v_cvt_u32_f32_e32 v4, v4
	v_mul_lo_u32 v7, s20, v4
	v_mul_hi_u32 v7, v4, v7
	v_add_u32_e32 v4, v4, v7
	v_mul_hi_u32 v4, v5, v4
	v_mul_lo_u32 v7, v4, s18
	v_add_u32_e32 v8, 1, v4
	v_sub_u32_e32 v7, v5, v7
	v_subrev_u32_e32 v9, s18, v7
	v_cmp_le_u32_e32 vcc, s18, v7
	v_cndmask_b32_e32 v7, v7, v9, vcc
	v_cndmask_b32_e32 v4, v4, v8, vcc
	v_add_u32_e32 v8, 1, v4
	v_cmp_le_u32_e32 vcc, s18, v7
	v_cndmask_b32_e32 v7, v4, v8, vcc
	v_mov_b32_e32 v8, v3
.LBB0_6:                                ;   in Loop: Header=BB0_2 Depth=1
	s_or_b64 exec, exec, s[0:1]
	v_mul_lo_u32 v4, v8, s18
	v_mul_lo_u32 v11, v7, s19
	v_mad_u64_u32 v[9:10], s[0:1], v7, s18, 0
	s_load_dwordx2 s[0:1], s[6:7], 0x0
	s_add_u32 s16, s16, 1
	v_add3_u32 v4, v10, v11, v4
	v_sub_co_u32_e32 v5, vcc, v5, v9
	v_subb_co_u32_e32 v4, vcc, v6, v4, vcc
	s_waitcnt lgkmcnt(0)
	v_mul_lo_u32 v4, s0, v4
	v_mul_lo_u32 v6, s1, v5
	v_mad_u64_u32 v[1:2], s[0:1], s0, v5, v[1:2]
	s_addc_u32 s17, s17, 0
	s_add_u32 s6, s6, 8
	v_add3_u32 v2, v6, v2, v4
	v_mov_b32_e32 v4, s10
	v_mov_b32_e32 v5, s11
	s_addc_u32 s7, s7, 0
	v_cmp_ge_u64_e32 vcc, s[16:17], v[4:5]
	s_add_u32 s14, s14, 8
	s_addc_u32 s15, s15, 0
	s_cbranch_vccnz .LBB0_9
; %bb.7:                                ;   in Loop: Header=BB0_2 Depth=1
	v_mov_b32_e32 v5, v7
	v_mov_b32_e32 v6, v8
	s_branch .LBB0_2
.LBB0_8:
	v_mov_b32_e32 v8, v6
	v_mov_b32_e32 v7, v5
.LBB0_9:
	s_lshl_b64 s[0:1], s[10:11], 3
	s_add_u32 s0, s2, s0
	s_addc_u32 s1, s3, s1
	s_load_dwordx2 s[2:3], s[0:1], 0x0
	s_load_dwordx2 s[6:7], s[4:5], 0x20
	v_mov_b32_e32 v14, 0
	v_mov_b32_e32 v15, 0
                                        ; implicit-def: $vgpr21
                                        ; implicit-def: $vgpr17
                                        ; implicit-def: $vgpr9
                                        ; implicit-def: $vgpr11
                                        ; implicit-def: $vgpr13
                                        ; implicit-def: $vgpr19
                                        ; implicit-def: $vgpr23
                                        ; implicit-def: $vgpr25
	s_waitcnt lgkmcnt(0)
	v_mad_u64_u32 v[1:2], s[0:1], s2, v7, v[1:2]
	v_mul_lo_u32 v3, s2, v8
	v_mul_lo_u32 v4, s3, v7
	s_mov_b32 s0, 0x1a98ef7
	v_mul_hi_u32 v5, v0, s0
	v_cmp_gt_u64_e64 s[0:1], s[6:7], v[7:8]
	v_add3_u32 v2, v4, v2, v3
	v_lshlrev_b64 v[2:3], 3, v[1:2]
	v_mul_u32_u24_e32 v4, 0x9a, v5
	v_sub_u32_e32 v0, v0, v4
                                        ; implicit-def: $vgpr5
                                        ; implicit-def: $vgpr7
	s_and_saveexec_b64 s[2:3], s[0:1]
	s_cbranch_execz .LBB0_11
; %bb.10:
	v_mov_b32_e32 v1, 0
	v_mov_b32_e32 v4, s13
	v_add_co_u32_e32 v6, vcc, s12, v2
	v_addc_co_u32_e32 v7, vcc, v4, v3, vcc
	v_lshlrev_b64 v[4:5], 3, v[0:1]
	s_movk_i32 s4, 0x1000
	v_add_co_u32_e32 v4, vcc, v6, v4
	v_addc_co_u32_e32 v5, vcc, v7, v5, vcc
	v_add_co_u32_e32 v26, vcc, s4, v4
	v_addc_co_u32_e32 v27, vcc, 0, v5, vcc
	s_movk_i32 s4, 0x2000
	v_add_co_u32_e32 v28, vcc, s4, v4
	v_addc_co_u32_e32 v29, vcc, 0, v5, vcc
	v_add_co_u32_e32 v30, vcc, 0x3000, v4
	global_load_dwordx2 v[14:15], v[4:5], off
	global_load_dwordx2 v[20:21], v[4:5], off offset:1232
	global_load_dwordx2 v[16:17], v[4:5], off offset:2464
	;; [unrolled: 1-line block ×3, first 2 shown]
	v_addc_co_u32_e32 v31, vcc, 0, v5, vcc
	global_load_dwordx2 v[10:11], v[26:27], off offset:832
	global_load_dwordx2 v[4:5], v[26:27], off offset:2064
	global_load_dwordx2 v[6:7], v[26:27], off offset:3296
	global_load_dwordx2 v[12:13], v[28:29], off offset:432
	global_load_dwordx2 v[18:19], v[28:29], off offset:1664
	global_load_dwordx2 v[22:23], v[28:29], off offset:2896
	global_load_dwordx2 v[24:25], v[30:31], off offset:32
.LBB0_11:
	s_or_b64 exec, exec, s[2:3]
	s_waitcnt vmcnt(0)
	v_sub_f32_e32 v26, v21, v25
	v_mul_f32_e32 v27, 0xbf0a6770, v26
	v_sub_f32_e32 v30, v17, v23
	v_add_f32_e32 v1, v20, v24
	v_mov_b32_e32 v28, v27
	v_mul_f32_e32 v31, 0xbf68dda4, v30
	v_fmac_f32_e32 v28, 0x3f575c64, v1
	v_add_f32_e32 v29, v16, v22
	v_mov_b32_e32 v32, v31
	v_sub_f32_e32 v33, v9, v19
	v_add_f32_e32 v28, v28, v14
	v_fmac_f32_e32 v32, 0x3ed4b147, v29
	v_mul_f32_e32 v34, 0xbf7d64f0, v33
	v_add_f32_e32 v28, v32, v28
	v_add_f32_e32 v32, v8, v18
	v_mov_b32_e32 v35, v34
	v_sub_f32_e32 v37, v11, v13
	v_fmac_f32_e32 v35, 0xbe11bafb, v32
	v_mul_f32_e32 v38, 0xbf4178ce, v37
	v_add_f32_e32 v28, v35, v28
	v_add_f32_e32 v35, v10, v12
	v_mov_b32_e32 v36, v38
	v_sub_f32_e32 v40, v5, v7
	v_fmac_f32_e32 v36, 0xbf27a4f4, v35
	v_mul_f32_e32 v41, 0xbe903f40, v40
	v_add_f32_e32 v28, v36, v28
	v_add_f32_e32 v39, v4, v6
	v_mov_b32_e32 v36, v41
	v_fmac_f32_e32 v36, 0xbf75a155, v39
	v_add_f32_e32 v28, v36, v28
	v_add_f32_e32 v36, v20, v14
	;; [unrolled: 1-line block ×11, first 2 shown]
	v_mad_u32_u24 v36, v0, 44, 0
	ds_write2_b32 v36, v42, v28 offset1:1
	v_mul_f32_e32 v28, 0xbf68dda4, v26
	v_mov_b32_e32 v42, v28
	v_mul_f32_e32 v43, 0xbf4178ce, v30
	v_fmac_f32_e32 v42, 0x3ed4b147, v1
	v_mov_b32_e32 v44, v43
	v_add_f32_e32 v42, v42, v14
	v_fmac_f32_e32 v44, 0xbf27a4f4, v29
	v_add_f32_e32 v42, v44, v42
	v_mul_f32_e32 v44, 0xbf7d64f0, v26
	v_mov_b32_e32 v45, v44
	v_mul_f32_e32 v46, 0x3e903f40, v30
	v_fmac_f32_e32 v45, 0xbe11bafb, v1
	v_mov_b32_e32 v47, v46
	v_add_f32_e32 v45, v45, v14
	v_fmac_f32_e32 v47, 0xbf75a155, v29
	v_add_f32_e32 v45, v47, v45
	v_mul_f32_e32 v47, 0x3e903f40, v33
	v_mov_b32_e32 v48, v47
	v_fmac_f32_e32 v48, 0xbf75a155, v32
	v_add_f32_e32 v42, v48, v42
	v_mul_f32_e32 v48, 0x3f68dda4, v33
	v_mov_b32_e32 v49, v48
	;; [unrolled: 4-line block ×6, first 2 shown]
	v_fmac_f32_e32 v53, 0xbf27a4f4, v39
	v_add_f32_e32 v45, v53, v45
	ds_write2_b32 v36, v42, v45 offset0:2 offset1:3
	v_mul_f32_e32 v42, 0xbf4178ce, v26
	v_mov_b32_e32 v45, v42
	v_mul_f32_e32 v53, 0x3f7d64f0, v30
	v_fmac_f32_e32 v45, 0xbf27a4f4, v1
	v_mov_b32_e32 v54, v53
	v_add_f32_e32 v45, v45, v14
	v_fmac_f32_e32 v54, 0xbe11bafb, v29
	v_mul_f32_e32 v26, 0xbe903f40, v26
	v_add_f32_e32 v45, v54, v45
	v_mov_b32_e32 v54, v26
	v_mul_f32_e32 v30, 0x3f0a6770, v30
	v_fmac_f32_e32 v54, 0xbf75a155, v1
	v_mov_b32_e32 v55, v30
	v_add_f32_e32 v54, v54, v14
	v_fmac_f32_e32 v55, 0x3f575c64, v29
	v_add_f32_e32 v54, v55, v54
	v_mul_f32_e32 v55, 0xbf0a6770, v33
	v_mov_b32_e32 v56, v55
	v_fmac_f32_e32 v56, 0x3f575c64, v32
	v_mul_f32_e32 v33, 0xbf4178ce, v33
	v_add_f32_e32 v45, v56, v45
	v_mov_b32_e32 v56, v33
	v_fmac_f32_e32 v56, 0xbf27a4f4, v32
	v_add_f32_e32 v54, v56, v54
	v_mul_f32_e32 v56, 0xbe903f40, v37
	v_mov_b32_e32 v57, v56
	v_fmac_f32_e32 v57, 0xbf75a155, v35
	v_mul_f32_e32 v37, 0x3f68dda4, v37
	v_add_f32_e32 v45, v57, v45
	v_mov_b32_e32 v57, v37
	;; [unrolled: 8-line block ×3, first 2 shown]
	v_fmac_f32_e32 v58, 0xbe11bafb, v39
	s_mov_b32 s5, 0xbf27a4f4
	s_mov_b32 s10, 0xbf75a155
	v_add_f32_e32 v54, v58, v54
	s_mov_b32 s4, 0xbe11bafb
	v_fma_f32 v42, v1, s5, -v42
	s_mov_b32 s6, 0x3f575c64
	v_fma_f32 v26, v1, s10, -v26
	ds_write2_b32 v36, v45, v54 offset0:4 offset1:5
	v_add_f32_e32 v42, v42, v14
	v_fma_f32 v45, v29, s4, -v53
	v_add_f32_e32 v26, v26, v14
	v_fma_f32 v30, v29, s6, -v30
	v_add_f32_e32 v42, v45, v42
	v_add_f32_e32 v26, v30, v26
	v_fma_f32 v30, v32, s6, -v55
	v_fma_f32 v33, v32, s5, -v33
	v_add_f32_e32 v30, v30, v42
	v_add_f32_e32 v26, v33, v26
	v_fma_f32 v33, v35, s10, -v56
	s_mov_b32 s7, 0x3ed4b147
	v_add_f32_e32 v30, v33, v30
	v_fma_f32 v33, v35, s7, -v37
	v_add_f32_e32 v26, v33, v26
	v_fma_f32 v33, v39, s7, -v57
	;; [unrolled: 2-line block ×3, first 2 shown]
	v_add_f32_e32 v26, v33, v26
	ds_write2_b32 v36, v26, v30 offset0:6 offset1:7
	v_fma_f32 v26, v1, s7, -v28
	v_add_f32_e32 v26, v26, v14
	v_fma_f32 v28, v29, s5, -v43
	v_add_f32_e32 v26, v28, v26
	;; [unrolled: 2-line block ×10, first 2 shown]
	v_fma_f32 v1, v1, s6, -v27
	ds_write2_b32 v36, v28, v26 offset0:8 offset1:9
	v_fma_f32 v26, v29, s7, -v31
	v_add_f32_e32 v1, v1, v14
	v_add_f32_e32 v1, v26, v1
	v_fma_f32 v14, v32, s4, -v34
	v_add_f32_e32 v1, v14, v1
	v_fma_f32 v14, v35, s5, -v38
	;; [unrolled: 2-line block ×3, first 2 shown]
	s_movk_i32 s2, 0xffd8
	v_add_f32_e32 v39, v14, v1
	v_mad_i32_i24 v1, v0, s2, v36
	ds_write_b32 v36, v39 offset:40
	s_waitcnt lgkmcnt(0)
	s_barrier
	v_add_u32_e32 v14, 0x980, v1
	v_add_u32_e32 v38, 0xf00, v1
	;; [unrolled: 1-line block ×4, first 2 shown]
	ds_read2_b32 v[32:33], v1 offset1:154
	ds_read2_b32 v[30:31], v14 offset0:8 offset1:239
	ds_read2_b32 v[28:29], v38 offset0:41 offset1:195
	;; [unrolled: 1-line block ×4, first 2 shown]
	s_movk_i32 s2, 0x4d
	v_cmp_gt_u32_e32 vcc, s2, v0
                                        ; implicit-def: $vgpr40
	s_and_saveexec_b64 s[2:3], vcc
	s_cbranch_execz .LBB0_13
; %bb.12:
	ds_read_b32 v39, v1 offset:3080
	ds_read_b32 v40, v1 offset:6468
.LBB0_13:
	s_or_b64 exec, exec, s[2:3]
	v_add_f32_e32 v42, v21, v15
	v_add_f32_e32 v42, v17, v42
	;; [unrolled: 1-line block ×8, first 2 shown]
	v_sub_f32_e32 v20, v20, v24
	v_add_f32_e32 v42, v23, v42
	v_add_f32_e32 v21, v21, v25
	v_mul_f32_e32 v24, 0xbf0a6770, v20
	v_mul_f32_e32 v43, 0xbf68dda4, v20
	v_mul_f32_e32 v45, 0xbf7d64f0, v20
	v_mul_f32_e32 v47, 0xbf4178ce, v20
	v_mul_f32_e32 v20, 0xbe903f40, v20
	v_add_f32_e32 v42, v25, v42
	v_fma_f32 v25, v21, s6, -v24
	v_fmac_f32_e32 v24, 0x3f575c64, v21
	v_fma_f32 v44, v21, s7, -v43
	v_fmac_f32_e32 v43, 0x3ed4b147, v21
	v_fma_f32 v46, v21, s4, -v45
	v_fmac_f32_e32 v45, 0xbe11bafb, v21
	v_fma_f32 v48, v21, s5, -v47
	v_fmac_f32_e32 v47, 0xbf27a4f4, v21
	v_fma_f32 v49, v21, s10, -v20
	v_fmac_f32_e32 v20, 0xbf75a155, v21
	v_sub_f32_e32 v16, v16, v22
	v_add_f32_e32 v25, v25, v15
	v_add_f32_e32 v24, v24, v15
	;; [unrolled: 1-line block ×11, first 2 shown]
	v_mul_f32_e32 v20, 0xbf68dda4, v16
	v_fma_f32 v21, v17, s7, -v20
	v_fmac_f32_e32 v20, 0x3ed4b147, v17
	v_mul_f32_e32 v22, 0xbf4178ce, v16
	v_add_f32_e32 v20, v20, v24
	v_fma_f32 v23, v17, s5, -v22
	v_fmac_f32_e32 v22, 0xbf27a4f4, v17
	v_mul_f32_e32 v24, 0x3e903f40, v16
	v_add_f32_e32 v21, v21, v25
	v_add_f32_e32 v22, v22, v43
	v_fma_f32 v25, v17, s10, -v24
	v_fmac_f32_e32 v24, 0xbf75a155, v17
	v_mul_f32_e32 v43, 0x3f7d64f0, v16
	v_mul_f32_e32 v16, 0x3f0a6770, v16
	v_add_f32_e32 v24, v24, v45
	v_fma_f32 v45, v17, s6, -v16
	v_fmac_f32_e32 v16, 0x3f575c64, v17
	v_sub_f32_e32 v8, v8, v18
	v_add_f32_e32 v15, v16, v15
	v_add_f32_e32 v9, v9, v19
	v_mul_f32_e32 v16, 0xbf7d64f0, v8
	v_add_f32_e32 v23, v23, v44
	v_fma_f32 v44, v17, s4, -v43
	v_fmac_f32_e32 v43, 0xbe11bafb, v17
	v_fma_f32 v17, v9, s4, -v16
	v_fmac_f32_e32 v16, 0xbe11bafb, v9
	v_mul_f32_e32 v18, 0x3e903f40, v8
	v_add_f32_e32 v16, v16, v20
	v_fma_f32 v19, v9, s10, -v18
	v_fmac_f32_e32 v18, 0xbf75a155, v9
	v_mul_f32_e32 v20, 0x3f68dda4, v8
	v_add_f32_e32 v17, v17, v21
	v_add_f32_e32 v18, v18, v22
	v_fma_f32 v21, v9, s7, -v20
	v_fmac_f32_e32 v20, 0x3ed4b147, v9
	v_mul_f32_e32 v22, 0xbf0a6770, v8
	v_mul_f32_e32 v8, 0xbf4178ce, v8
	v_sub_f32_e32 v10, v10, v12
	v_add_f32_e32 v19, v19, v23
	v_add_f32_e32 v20, v20, v24
	v_fma_f32 v23, v9, s6, -v22
	v_fmac_f32_e32 v22, 0x3f575c64, v9
	v_fma_f32 v24, v9, s5, -v8
	v_fmac_f32_e32 v8, 0xbf27a4f4, v9
	v_add_f32_e32 v9, v11, v13
	v_mul_f32_e32 v11, 0xbf4178ce, v10
	v_fma_f32 v12, v9, s5, -v11
	v_fmac_f32_e32 v11, 0xbf27a4f4, v9
	v_mul_f32_e32 v13, 0x3f7d64f0, v10
	v_sub_f32_e32 v4, v4, v6
	v_add_f32_e32 v8, v8, v15
	v_add_f32_e32 v11, v11, v16
	v_fma_f32 v15, v9, s4, -v13
	v_fmac_f32_e32 v13, 0xbe11bafb, v9
	v_mul_f32_e32 v16, 0xbf0a6770, v10
	v_add_f32_e32 v5, v5, v7
	v_mul_f32_e32 v6, 0xbe903f40, v4
	v_add_f32_e32 v25, v25, v46
	v_add_f32_e32 v12, v12, v17
	;; [unrolled: 1-line block ×3, first 2 shown]
	v_fma_f32 v17, v9, s6, -v16
	v_fmac_f32_e32 v16, 0x3f575c64, v9
	v_mul_f32_e32 v18, 0xbe903f40, v10
	v_mul_f32_e32 v10, 0x3f68dda4, v10
	v_fma_f32 v7, v5, s10, -v6
	v_fmac_f32_e32 v6, 0xbf75a155, v5
	v_add_f32_e32 v44, v44, v48
	v_add_f32_e32 v43, v43, v47
	;; [unrolled: 1-line block ×4, first 2 shown]
	v_fma_f32 v20, v9, s7, -v10
	v_fmac_f32_e32 v10, 0x3ed4b147, v9
	v_add_f32_e32 v25, v6, v11
	v_mul_f32_e32 v6, 0x3f0a6770, v4
	v_add_f32_e32 v45, v45, v49
	v_add_f32_e32 v23, v23, v44
	;; [unrolled: 1-line block ×4, first 2 shown]
	v_fma_f32 v19, v9, s10, -v18
	v_fmac_f32_e32 v18, 0xbf75a155, v9
	v_add_f32_e32 v8, v10, v8
	v_add_f32_e32 v7, v7, v12
	v_fma_f32 v9, v5, s6, -v6
	v_fmac_f32_e32 v6, 0x3f575c64, v5
	v_mul_f32_e32 v10, 0xbf4178ce, v4
	v_mul_f32_e32 v12, 0x3f68dda4, v4
	v_add_f32_e32 v24, v24, v45
	v_add_f32_e32 v17, v17, v21
	;; [unrolled: 1-line block ×5, first 2 shown]
	v_fma_f32 v11, v5, s5, -v10
	v_fmac_f32_e32 v10, 0xbf27a4f4, v5
	v_fma_f32 v13, v5, s7, -v12
	v_fmac_f32_e32 v12, 0x3ed4b147, v5
	v_mul_f32_e32 v4, 0xbf7d64f0, v4
	v_add_f32_e32 v20, v20, v24
	v_add_f32_e32 v9, v9, v15
	;; [unrolled: 1-line block ×6, first 2 shown]
	v_fma_f32 v15, v5, s4, -v4
	v_fmac_f32_e32 v4, 0xbe11bafb, v5
	v_add_f32_e32 v15, v15, v20
	v_add_f32_e32 v4, v4, v8
	s_waitcnt lgkmcnt(0)
	s_barrier
	ds_write2_b32 v36, v42, v7 offset1:1
	ds_write2_b32 v36, v9, v11 offset0:2 offset1:3
	ds_write2_b32 v36, v13, v15 offset0:4 offset1:5
	ds_write2_b32 v36, v4, v12 offset0:6 offset1:7
	ds_write2_b32 v36, v10, v6 offset0:8 offset1:9
	ds_write_b32 v36, v25 offset:40
	s_waitcnt lgkmcnt(0)
	s_barrier
	ds_read2_b32 v[9:10], v1 offset1:154
	ds_read2_b32 v[5:6], v14 offset0:8 offset1:239
	ds_read2_b32 v[13:14], v38 offset0:41 offset1:195
	ds_read2_b32 v[7:8], v37 offset0:52 offset1:206
	ds_read2_b32 v[11:12], v41 offset0:29 offset1:183
                                        ; implicit-def: $vgpr41
	s_and_saveexec_b64 s[2:3], vcc
	s_cbranch_execz .LBB0_15
; %bb.14:
	ds_read_b32 v25, v1 offset:3080
	ds_read_b32 v41, v1 offset:6468
.LBB0_15:
	s_or_b64 exec, exec, s[2:3]
	s_movk_i32 s2, 0x75
	v_mul_lo_u16_sdwa v17, v0, s2 dst_sel:DWORD dst_unused:UNUSED_PAD src0_sel:BYTE_0 src1_sel:DWORD
	v_sub_u16_sdwa v18, v0, v17 dst_sel:DWORD dst_unused:UNUSED_PAD src0_sel:DWORD src1_sel:BYTE_1
	v_lshrrev_b16_e32 v18, 1, v18
	v_and_b32_e32 v18, 0x7f, v18
	v_add_u16_sdwa v17, v18, v17 dst_sel:DWORD dst_unused:UNUSED_PAD src0_sel:DWORD src1_sel:BYTE_1
	v_lshrrev_b16_e32 v46, 3, v17
	v_mul_lo_u16_e32 v17, 11, v46
	v_add_u32_e32 v38, 0x9a, v0
	v_sub_u16_e32 v47, v0, v17
	v_mov_b32_e32 v17, 3
	s_mov_b32 s2, 0xba2f
	v_lshlrev_b32_sdwa v42, v17, v47 dst_sel:DWORD dst_unused:UNUSED_PAD src0_sel:DWORD src1_sel:BYTE_0
	v_mul_u32_u24_sdwa v17, v38, s2 dst_sel:DWORD dst_unused:UNUSED_PAD src0_sel:WORD_0 src1_sel:DWORD
	v_lshrrev_b32_e32 v43, 19, v17
	v_add_u32_e32 v4, 0x134, v0
	v_mul_lo_u16_e32 v17, 11, v43
	v_sub_u16_e32 v44, v38, v17
	v_mul_u32_u24_sdwa v17, v4, s2 dst_sel:DWORD dst_unused:UNUSED_PAD src0_sel:WORD_0 src1_sel:DWORD
	v_lshrrev_b32_e32 v48, 19, v17
	v_add_u32_e32 v15, 0x268, v0
	v_mul_lo_u16_e32 v17, 11, v48
	v_sub_u16_e32 v4, v4, v17
	;; [unrolled: 5-line block ×3, first 2 shown]
	v_mul_u32_u24_sdwa v15, v16, s2 dst_sel:DWORD dst_unused:UNUSED_PAD src0_sel:WORD_0 src1_sel:DWORD
	v_lshrrev_b32_e32 v52, 19, v15
	v_mul_lo_u16_e32 v15, 11, v52
	v_add_u32_e32 v19, 0x1ce, v0
	v_lshlrev_b32_e32 v20, 3, v51
	v_sub_u16_e32 v53, v16, v15
	v_lshlrev_b32_e32 v21, 3, v53
	global_load_dwordx2 v[17:18], v20, s[8:9]
	global_load_dwordx2 v[15:16], v21, s[8:9]
	v_mul_u32_u24_sdwa v20, v19, s2 dst_sel:DWORD dst_unused:UNUSED_PAD src0_sel:WORD_0 src1_sel:DWORD
	v_lshrrev_b32_e32 v54, 19, v20
	v_mul_lo_u16_e32 v20, 11, v54
	v_sub_u16_e32 v55, v19, v20
	v_lshlrev_b32_e32 v45, 3, v44
	v_lshlrev_b32_e32 v49, 3, v4
	;; [unrolled: 1-line block ×3, first 2 shown]
	global_load_dwordx2 v[36:37], v42, s[8:9]
	global_load_dwordx2 v[23:24], v45, s[8:9]
	;; [unrolled: 1-line block ×4, first 2 shown]
	v_mov_b32_e32 v49, 2
	v_mul_u32_u24_e32 v42, 0x58, v43
	v_mul_u32_u24_e32 v43, 0x58, v48
	v_lshlrev_b32_e32 v4, 2, v4
	v_add3_u32 v43, 0, v43, v4
	v_mul_u32_u24_e32 v4, 0x58, v46
	v_lshlrev_b32_sdwa v46, v49, v47 dst_sel:DWORD dst_unused:UNUSED_PAD src0_sel:DWORD src1_sel:BYTE_0
	v_add3_u32 v46, 0, v4, v46
	v_mul_u32_u24_e32 v45, 0x58, v54
	v_mul_u32_u24_e32 v48, 0x58, v50
	v_lshlrev_b32_e32 v44, 2, v44
	v_lshlrev_b32_e32 v50, 2, v55
	;; [unrolled: 1-line block ×3, first 2 shown]
	v_add3_u32 v42, 0, v42, v44
	v_add3_u32 v44, 0, v45, v50
	;; [unrolled: 1-line block ×3, first 2 shown]
	s_waitcnt vmcnt(0) lgkmcnt(0)
	s_barrier
	v_mul_f32_e32 v4, v12, v18
	v_mul_f32_e32 v47, v41, v16
	v_fmac_f32_e32 v4, v27, v17
	v_fmac_f32_e32 v47, v40, v15
	v_sub_f32_e32 v48, v30, v4
	v_sub_f32_e32 v4, v39, v47
	v_mul_f32_e32 v47, v6, v37
	v_mul_f32_e32 v49, v13, v24
	;; [unrolled: 1-line block ×4, first 2 shown]
	v_fmac_f32_e32 v47, v31, v36
	v_fmac_f32_e32 v49, v28, v23
	;; [unrolled: 1-line block ×4, first 2 shown]
	v_sub_f32_e32 v47, v32, v47
	v_fma_f32 v30, v30, 2.0, -v48
	v_sub_f32_e32 v49, v33, v49
	v_sub_f32_e32 v50, v34, v50
	;; [unrolled: 1-line block ×3, first 2 shown]
	v_fma_f32 v32, v32, 2.0, -v47
	v_fma_f32 v33, v33, 2.0, -v49
	;; [unrolled: 1-line block ×4, first 2 shown]
	ds_write2_b32 v46, v32, v47 offset1:11
	ds_write2_b32 v42, v33, v49 offset1:11
	;; [unrolled: 1-line block ×5, first 2 shown]
	v_mul_lo_u16_e32 v30, 22, v52
	v_lshlrev_b32_e32 v32, 2, v53
	s_and_saveexec_b64 s[2:3], vcc
	s_cbranch_execz .LBB0_17
; %bb.16:
	v_lshlrev_b32_e32 v34, 2, v30
	v_fma_f32 v33, v39, 2.0, -v4
	v_add3_u32 v34, 0, v32, v34
	ds_write2_b32 v34, v33, v4 offset1:11
.LBB0_17:
	s_or_b64 exec, exec, s[2:3]
	v_mul_f32_e32 v31, v31, v37
	v_mul_f32_e32 v24, v28, v24
	;; [unrolled: 1-line block ×3, first 2 shown]
	v_fma_f32 v6, v6, v36, -v31
	v_fma_f32 v13, v13, v23, -v24
	v_mul_f32_e32 v22, v29, v22
	v_mul_f32_e32 v20, v26, v20
	v_fma_f32 v12, v12, v17, -v18
	v_mul_f32_e32 v16, v40, v16
	v_fma_f32 v14, v14, v21, -v22
	v_fma_f32 v11, v11, v19, -v20
	;; [unrolled: 1-line block ×3, first 2 shown]
	v_sub_f32_e32 v23, v9, v6
	v_sub_f32_e32 v26, v10, v13
	;; [unrolled: 1-line block ×3, first 2 shown]
	v_add_u32_e32 v20, 0x400, v1
	v_add_u32_e32 v21, 0xe00, v1
	v_add_u32_e32 v22, 0x1200, v1
	v_fma_f32 v24, v9, 2.0, -v23
	v_fma_f32 v27, v10, 2.0, -v26
	v_sub_f32_e32 v28, v7, v14
	v_sub_f32_e32 v29, v8, v11
	v_fma_f32 v33, v5, 2.0, -v31
	v_sub_f32_e32 v6, v25, v15
	s_waitcnt lgkmcnt(0)
	s_barrier
	ds_read2_b32 v[9:10], v1 offset1:154
	ds_read2_b32 v[15:16], v20 offset0:52 offset1:206
	ds_read_b32 v17, v1 offset:2464
	v_lshl_add_u32 v19, v0, 2, 0
	ds_read2_b32 v[13:14], v21 offset0:28 offset1:182
	ds_read2_b32 v[11:12], v22 offset0:80 offset1:234
	ds_read_b32 v18, v19 offset:3080
	ds_read_b32 v5, v1 offset:6160
	v_fma_f32 v7, v7, 2.0, -v28
	v_fma_f32 v8, v8, 2.0, -v29
	s_waitcnt lgkmcnt(0)
	s_barrier
	ds_write2_b32 v46, v24, v23 offset1:11
	ds_write2_b32 v42, v27, v26 offset1:11
	;; [unrolled: 1-line block ×5, first 2 shown]
	s_and_saveexec_b64 s[2:3], vcc
	s_cbranch_execz .LBB0_19
; %bb.18:
	v_lshlrev_b32_e32 v8, 2, v30
	v_fma_f32 v7, v25, 2.0, -v6
	v_add3_u32 v8, 0, v32, v8
	ds_write2_b32 v8, v7, v6 offset1:11
.LBB0_19:
	s_or_b64 exec, exec, s[2:3]
	v_lshrrev_b16_e32 v7, 1, v0
	v_and_b32_e32 v7, 0x7f, v7
	v_mul_lo_u16_e32 v7, 0xbb, v7
	v_lshrrev_b16_e32 v60, 11, v7
	v_mul_lo_u16_e32 v7, 22, v60
	v_sub_u16_e32 v61, v0, v7
	v_mov_b32_e32 v7, 10
	v_mul_u32_u24_sdwa v7, v61, v7 dst_sel:DWORD dst_unused:UNUSED_PAD src0_sel:BYTE_0 src1_sel:DWORD
	v_lshlrev_b32_e32 v7, 3, v7
	s_waitcnt lgkmcnt(0)
	s_barrier
	global_load_dwordx4 v[25:28], v7, s[8:9] offset:88
	global_load_dwordx4 v[40:43], v7, s[8:9] offset:104
	;; [unrolled: 1-line block ×5, first 2 shown]
	ds_read2_b32 v[7:8], v1 offset1:154
	ds_read2_b32 v[29:30], v20 offset0:52 offset1:206
	ds_read_b32 v31, v1 offset:2464
	ds_read2_b32 v[56:57], v21 offset0:28 offset1:182
	ds_read2_b32 v[58:59], v22 offset0:80 offset1:234
	ds_read_b32 v19, v19 offset:3080
	ds_read_b32 v62, v1 offset:6160
	s_mov_b32 s4, 0x3f575c64
	s_mov_b32 s2, 0x3ed4b147
	s_mov_b32 s3, 0xbe11bafb
	s_mov_b32 s6, 0xbf75a155
	s_waitcnt vmcnt(0) lgkmcnt(0)
	s_barrier
	v_mul_f32_e32 v32, v29, v28
	v_mul_f32_e32 v28, v15, v28
	;; [unrolled: 1-line block ×9, first 2 shown]
	v_fma_f32 v33, v29, v27, -v28
	v_mul_f32_e32 v28, v5, v55
	v_fmac_f32_e32 v35, v10, v25
	v_fma_f32 v37, v8, v25, -v22
	v_fmac_f32_e32 v32, v15, v27
	v_mul_f32_e32 v10, v11, v51
	v_fma_f32 v15, v19, v44, -v43
	v_fma_f32 v43, v62, v54, -v28
	v_mul_f32_e32 v21, v56, v47
	v_mul_f32_e32 v27, v58, v51
	;; [unrolled: 1-line block ×3, first 2 shown]
	v_fmac_f32_e32 v26, v16, v40
	v_mul_f32_e32 v16, v12, v53
	v_mul_f32_e32 v39, v62, v55
	v_fma_f32 v25, v31, v42, -v41
	v_fma_f32 v31, v58, v50, -v10
	v_sub_f32_e32 v10, v37, v43
	v_mul_f32_e32 v20, v19, v45
	v_mul_f32_e32 v45, v13, v47
	;; [unrolled: 1-line block ×4, first 2 shown]
	v_fma_f32 v30, v30, v40, -v36
	v_fmac_f32_e32 v21, v13, v46
	v_fmac_f32_e32 v27, v11, v50
	;; [unrolled: 1-line block ×3, first 2 shown]
	v_fma_f32 v36, v59, v52, -v16
	v_fmac_f32_e32 v39, v5, v54
	v_mul_f32_e32 v11, 0xbf0a6770, v10
	v_mul_f32_e32 v12, 0xbf68dda4, v10
	;; [unrolled: 1-line block ×5, first 2 shown]
	v_fmac_f32_e32 v23, v17, v42
	v_fmac_f32_e32 v20, v18, v44
	;; [unrolled: 1-line block ×3, first 2 shown]
	v_fma_f32 v14, v57, v48, -v8
	v_add_f32_e32 v8, v35, v39
	v_mov_b32_e32 v17, v11
	v_mov_b32_e32 v18, v12
	;; [unrolled: 1-line block ×5, first 2 shown]
	v_fma_f32 v11, v8, s4, -v11
	v_fma_f32 v12, v8, s2, -v12
	;; [unrolled: 1-line block ×3, first 2 shown]
	v_fmac_f32_e32 v17, 0x3f575c64, v8
	v_fmac_f32_e32 v18, 0x3ed4b147, v8
	v_fmac_f32_e32 v19, 0xbe11bafb, v8
	v_fmac_f32_e32 v28, 0xbf27a4f4, v8
	v_fma_f32 v16, v8, s5, -v16
	v_fmac_f32_e32 v29, 0xbf75a155, v8
	v_fma_f32 v8, v8, s6, -v10
	v_sub_f32_e32 v10, v33, v36
	v_add_f32_e32 v5, v9, v35
	v_add_f32_e32 v11, v9, v11
	;; [unrolled: 1-line block ×12, first 2 shown]
	v_mul_f32_e32 v40, 0xbf68dda4, v10
	v_mov_b32_e32 v41, v40
	v_fma_f32 v40, v9, s2, -v40
	v_fmac_f32_e32 v41, 0x3ed4b147, v9
	v_add_f32_e32 v11, v40, v11
	v_mul_f32_e32 v40, 0xbf4178ce, v10
	v_add_f32_e32 v17, v41, v17
	v_mov_b32_e32 v41, v40
	v_fma_f32 v40, v9, s5, -v40
	v_fmac_f32_e32 v41, 0xbf27a4f4, v9
	v_add_f32_e32 v12, v40, v12
	v_mul_f32_e32 v40, 0x3e903f40, v10
	v_add_f32_e32 v18, v41, v18
	v_mov_b32_e32 v41, v40
	v_fma_f32 v40, v9, s6, -v40
	v_fmac_f32_e32 v41, 0xbf75a155, v9
	v_add_f32_e32 v13, v40, v13
	v_mul_f32_e32 v40, 0x3f7d64f0, v10
	v_add_f32_e32 v19, v41, v19
	v_mov_b32_e32 v41, v40
	v_fma_f32 v40, v9, s3, -v40
	v_mul_f32_e32 v10, 0x3f0a6770, v10
	v_add_f32_e32 v16, v40, v16
	v_mov_b32_e32 v40, v10
	v_fmac_f32_e32 v41, 0xbe11bafb, v9
	v_fmac_f32_e32 v40, 0x3f575c64, v9
	v_fma_f32 v9, v9, s4, -v10
	v_sub_f32_e32 v10, v30, v31
	v_add_f32_e32 v29, v40, v29
	v_add_f32_e32 v8, v9, v8
	;; [unrolled: 1-line block ×3, first 2 shown]
	v_mul_f32_e32 v40, 0xbf7d64f0, v10
	v_add_f32_e32 v28, v41, v28
	v_mov_b32_e32 v41, v40
	v_fma_f32 v40, v9, s3, -v40
	v_fmac_f32_e32 v41, 0xbe11bafb, v9
	v_add_f32_e32 v11, v40, v11
	v_mul_f32_e32 v40, 0x3e903f40, v10
	v_add_f32_e32 v17, v41, v17
	v_mov_b32_e32 v41, v40
	v_fma_f32 v40, v9, s6, -v40
	v_fmac_f32_e32 v41, 0xbf75a155, v9
	v_add_f32_e32 v12, v40, v12
	;; [unrolled: 6-line block ×3, first 2 shown]
	v_mul_f32_e32 v40, 0xbf0a6770, v10
	v_add_f32_e32 v19, v41, v19
	v_mov_b32_e32 v41, v40
	v_fma_f32 v40, v9, s4, -v40
	v_mul_f32_e32 v10, 0xbf4178ce, v10
	v_add_f32_e32 v16, v40, v16
	v_mov_b32_e32 v40, v10
	v_fmac_f32_e32 v41, 0x3f575c64, v9
	v_fmac_f32_e32 v40, 0xbf27a4f4, v9
	v_fma_f32 v9, v9, s5, -v10
	v_sub_f32_e32 v10, v25, v14
	v_add_f32_e32 v29, v40, v29
	v_add_f32_e32 v8, v9, v8
	;; [unrolled: 1-line block ×3, first 2 shown]
	v_mul_f32_e32 v40, 0xbf4178ce, v10
	v_add_f32_e32 v28, v41, v28
	v_mov_b32_e32 v41, v40
	v_fma_f32 v40, v9, s5, -v40
	v_fmac_f32_e32 v41, 0xbf27a4f4, v9
	v_add_f32_e32 v11, v40, v11
	v_mul_f32_e32 v40, 0x3f7d64f0, v10
	v_add_f32_e32 v17, v41, v17
	v_mov_b32_e32 v41, v40
	v_fma_f32 v40, v9, s3, -v40
	v_fmac_f32_e32 v41, 0xbe11bafb, v9
	v_add_f32_e32 v12, v40, v12
	;; [unrolled: 6-line block ×3, first 2 shown]
	v_mul_f32_e32 v40, 0xbe903f40, v10
	v_add_f32_e32 v19, v41, v19
	v_mov_b32_e32 v41, v40
	v_fma_f32 v40, v9, s6, -v40
	v_mul_f32_e32 v10, 0x3f68dda4, v10
	v_fma_f32 v22, v56, v46, -v45
	v_add_f32_e32 v16, v40, v16
	v_mov_b32_e32 v40, v10
	v_fmac_f32_e32 v41, 0xbf75a155, v9
	v_fmac_f32_e32 v40, 0x3ed4b147, v9
	v_fma_f32 v9, v9, s2, -v10
	v_sub_f32_e32 v42, v15, v22
	v_add_f32_e32 v28, v41, v28
	v_add_f32_e32 v29, v40, v29
	;; [unrolled: 1-line block ×4, first 2 shown]
	v_mul_f32_e32 v8, 0xbe903f40, v42
	v_mov_b32_e32 v9, v8
	v_fma_f32 v8, v41, s6, -v8
	v_fmac_f32_e32 v9, 0xbf75a155, v41
	v_add_f32_e32 v11, v8, v11
	v_mul_f32_e32 v8, 0x3f0a6770, v42
	v_add_f32_e32 v17, v9, v17
	v_mov_b32_e32 v9, v8
	v_fma_f32 v8, v41, s4, -v8
	v_fmac_f32_e32 v9, 0x3f575c64, v41
	v_add_f32_e32 v10, v8, v12
	v_mul_f32_e32 v8, 0xbf4178ce, v42
	v_add_f32_e32 v18, v9, v18
	v_mov_b32_e32 v9, v8
	v_add_f32_e32 v5, v5, v32
	v_fmac_f32_e32 v9, 0xbf27a4f4, v41
	v_fma_f32 v8, v41, s5, -v8
	v_add_f32_e32 v5, v5, v26
	v_add_f32_e32 v12, v9, v19
	;; [unrolled: 1-line block ×3, first 2 shown]
	v_mul_f32_e32 v8, 0x3f68dda4, v42
	v_add_f32_e32 v5, v5, v23
	v_mov_b32_e32 v13, v8
	v_fma_f32 v8, v41, s2, -v8
	v_add_f32_e32 v5, v5, v20
	v_add_f32_e32 v8, v8, v16
	v_mul_f32_e32 v16, 0xbf7d64f0, v42
	v_add_f32_e32 v5, v5, v21
	v_mov_b32_e32 v19, v16
	v_add_f32_e32 v5, v5, v24
	v_fmac_f32_e32 v19, 0xbe11bafb, v41
	v_add_f32_e32 v5, v5, v27
	v_fmac_f32_e32 v13, 0x3ed4b147, v41
	v_add_f32_e32 v19, v19, v29
	v_mov_b32_e32 v29, 2
	v_add_f32_e32 v5, v5, v34
	v_add_f32_e32 v13, v13, v28
	v_fma_f32 v16, v41, s3, -v16
	v_mul_u32_u24_e32 v28, 0x3c8, v60
	v_lshlrev_b32_sdwa v29, v29, v61 dst_sel:DWORD dst_unused:UNUSED_PAD src0_sel:DWORD src1_sel:BYTE_0
	v_add_f32_e32 v5, v5, v39
	v_add_f32_e32 v16, v16, v40
	v_add3_u32 v40, 0, v28, v29
	v_add_u32_e32 v41, 0x780, v1
	v_add_u32_e32 v42, 0xf00, v1
	ds_write2_b32 v40, v5, v17 offset1:22
	ds_write2_b32 v40, v18, v12 offset0:44 offset1:66
	ds_write2_b32 v40, v13, v19 offset0:88 offset1:110
	;; [unrolled: 1-line block ×4, first 2 shown]
	ds_write_b32 v40, v11 offset:880
	s_waitcnt lgkmcnt(0)
	s_barrier
	ds_read2_b32 v[12:13], v1 offset1:242
	ds_read2_b32 v[16:17], v41 offset0:4 offset1:246
	ds_read2_b32 v[18:19], v42 offset0:8 offset1:250
	ds_read_b32 v29, v1 offset:5808
	s_movk_i32 s2, 0x58
	v_cmp_gt_u32_e64 s[2:3], s2, v0
                                        ; implicit-def: $vgpr28
	s_and_saveexec_b64 s[4:5], s[2:3]
	s_cbranch_execz .LBB0_21
; %bb.20:
	v_add_u32_e32 v4, 0x240, v1
	ds_read2_b32 v[8:9], v4 offset0:10 offset1:252
	v_add_u32_e32 v4, 0x9e0, v1
	ds_read2_b32 v[10:11], v4 offset0:6 offset1:248
	;; [unrolled: 2-line block ×3, first 2 shown]
	ds_read_b32 v28, v1 offset:6424
.LBB0_21:
	s_or_b64 exec, exec, s[4:5]
	v_add_f32_e32 v44, v7, v37
	v_add_f32_e32 v44, v44, v33
	;; [unrolled: 1-line block ×10, first 2 shown]
	v_sub_f32_e32 v35, v35, v39
	v_mul_f32_e32 v39, 0x3f575c64, v37
	v_mul_f32_e32 v45, 0x3ed4b147, v37
	;; [unrolled: 1-line block ×5, first 2 shown]
	v_add_f32_e32 v33, v33, v36
	v_add_f32_e32 v44, v44, v43
	v_mov_b32_e32 v43, v39
	v_fmac_f32_e32 v39, 0xbf0a6770, v35
	v_mov_b32_e32 v46, v45
	v_mov_b32_e32 v48, v47
	;; [unrolled: 1-line block ×4, first 2 shown]
	v_sub_f32_e32 v32, v32, v34
	v_mul_f32_e32 v34, 0x3ed4b147, v33
	v_fmac_f32_e32 v43, 0x3f0a6770, v35
	v_add_f32_e32 v39, v7, v39
	v_fmac_f32_e32 v46, 0x3f68dda4, v35
	v_fmac_f32_e32 v45, 0xbf68dda4, v35
	;; [unrolled: 1-line block ×8, first 2 shown]
	v_mov_b32_e32 v35, v34
	v_fmac_f32_e32 v34, 0xbf68dda4, v32
	v_mul_f32_e32 v36, 0xbf27a4f4, v33
	v_add_f32_e32 v43, v7, v43
	v_add_f32_e32 v46, v7, v46
	;; [unrolled: 1-line block ×9, first 2 shown]
	v_fmac_f32_e32 v35, 0x3f68dda4, v32
	v_add_f32_e32 v34, v34, v39
	v_mov_b32_e32 v37, v36
	v_fmac_f32_e32 v36, 0xbf4178ce, v32
	v_mul_f32_e32 v39, 0xbf75a155, v33
	v_add_f32_e32 v35, v35, v43
	v_fmac_f32_e32 v37, 0x3f4178ce, v32
	v_add_f32_e32 v36, v36, v45
	v_mov_b32_e32 v43, v39
	v_fmac_f32_e32 v39, 0x3e903f40, v32
	v_mul_f32_e32 v45, 0xbe11bafb, v33
	v_mul_f32_e32 v33, 0x3f575c64, v33
	v_add_f32_e32 v30, v30, v31
	v_add_f32_e32 v37, v37, v46
	;; [unrolled: 1-line block ×3, first 2 shown]
	v_mov_b32_e32 v46, v45
	v_mov_b32_e32 v47, v33
	v_sub_f32_e32 v26, v26, v27
	v_mul_f32_e32 v27, 0xbe11bafb, v30
	v_fmac_f32_e32 v43, 0xbe903f40, v32
	v_fmac_f32_e32 v46, 0xbf7d64f0, v32
	;; [unrolled: 1-line block ×5, first 2 shown]
	v_mov_b32_e32 v31, v27
	v_fmac_f32_e32 v27, 0xbf7d64f0, v26
	v_mul_f32_e32 v32, 0xbf75a155, v30
	v_add_f32_e32 v7, v33, v7
	v_fmac_f32_e32 v31, 0x3f7d64f0, v26
	v_add_f32_e32 v27, v27, v34
	v_mov_b32_e32 v33, v32
	v_fmac_f32_e32 v32, 0x3e903f40, v26
	v_mul_f32_e32 v34, 0x3ed4b147, v30
	v_add_f32_e32 v31, v31, v35
	v_fmac_f32_e32 v33, 0xbe903f40, v26
	v_add_f32_e32 v32, v32, v36
	v_mov_b32_e32 v35, v34
	v_fmac_f32_e32 v34, 0x3f68dda4, v26
	v_mul_f32_e32 v36, 0x3f575c64, v30
	v_mul_f32_e32 v30, 0xbf27a4f4, v30
	v_add_f32_e32 v14, v25, v14
	v_add_f32_e32 v33, v33, v37
	;; [unrolled: 1-line block ×3, first 2 shown]
	v_mov_b32_e32 v37, v36
	v_mov_b32_e32 v39, v30
	v_sub_f32_e32 v23, v23, v24
	v_mul_f32_e32 v24, 0xbf27a4f4, v14
	v_fmac_f32_e32 v35, 0xbf68dda4, v26
	v_fmac_f32_e32 v37, 0x3f0a6770, v26
	;; [unrolled: 1-line block ×5, first 2 shown]
	v_mov_b32_e32 v25, v24
	v_fmac_f32_e32 v24, 0xbf4178ce, v23
	v_mul_f32_e32 v26, 0xbe11bafb, v14
	v_add_f32_e32 v7, v30, v7
	v_fmac_f32_e32 v25, 0x3f4178ce, v23
	v_add_f32_e32 v24, v24, v27
	v_mov_b32_e32 v27, v26
	v_fmac_f32_e32 v26, 0x3f7d64f0, v23
	v_mul_f32_e32 v30, 0x3f575c64, v14
	v_add_f32_e32 v25, v25, v31
	v_fmac_f32_e32 v27, 0xbf7d64f0, v23
	v_add_f32_e32 v26, v26, v32
	v_mov_b32_e32 v31, v30
	v_fmac_f32_e32 v30, 0xbf0a6770, v23
	v_mul_f32_e32 v32, 0xbf75a155, v14
	v_mul_f32_e32 v14, 0x3ed4b147, v14
	v_add_f32_e32 v27, v27, v33
	v_add_f32_e32 v30, v30, v34
	v_mov_b32_e32 v33, v32
	v_mov_b32_e32 v34, v14
	v_fmac_f32_e32 v14, 0x3f68dda4, v23
	v_add_f32_e32 v22, v15, v22
	v_fmac_f32_e32 v31, 0x3f0a6770, v23
	v_fmac_f32_e32 v33, 0x3e903f40, v23
	;; [unrolled: 1-line block ×4, first 2 shown]
	v_add_f32_e32 v7, v14, v7
	v_sub_f32_e32 v23, v20, v21
	v_mul_f32_e32 v14, 0xbf75a155, v22
	v_mov_b32_e32 v15, v14
	v_fmac_f32_e32 v14, 0xbe903f40, v23
	v_fmac_f32_e32 v15, 0x3e903f40, v23
	v_add_f32_e32 v21, v14, v24
	v_mul_f32_e32 v14, 0x3f575c64, v22
	v_add_f32_e32 v25, v15, v25
	v_mov_b32_e32 v15, v14
	v_fmac_f32_e32 v14, 0x3f0a6770, v23
	v_add_f32_e32 v43, v43, v48
	v_fmac_f32_e32 v15, 0xbf0a6770, v23
	v_add_f32_e32 v20, v14, v26
	v_mul_f32_e32 v14, 0xbf27a4f4, v22
	v_add_f32_e32 v35, v35, v43
	v_add_f32_e32 v24, v15, v27
	v_mov_b32_e32 v15, v14
	v_add_f32_e32 v31, v31, v35
	v_fmac_f32_e32 v15, 0x3f4178ce, v23
	v_fmac_f32_e32 v14, 0xbf4178ce, v23
	v_add_f32_e32 v46, v46, v50
	v_add_f32_e32 v26, v15, v31
	v_add_f32_e32 v15, v14, v30
	v_mul_f32_e32 v14, 0x3ed4b147, v22
	v_add_f32_e32 v45, v45, v49
	v_add_f32_e32 v47, v47, v51
	;; [unrolled: 1-line block ×3, first 2 shown]
	v_mov_b32_e32 v27, v14
	v_mul_f32_e32 v22, 0xbe11bafb, v22
	v_add_f32_e32 v36, v36, v45
	v_add_f32_e32 v39, v39, v47
	;; [unrolled: 1-line block ×3, first 2 shown]
	v_fmac_f32_e32 v27, 0xbf68dda4, v23
	v_mov_b32_e32 v30, v22
	v_add_f32_e32 v32, v32, v36
	v_add_f32_e32 v34, v34, v39
	;; [unrolled: 1-line block ×3, first 2 shown]
	v_fmac_f32_e32 v14, 0x3f68dda4, v23
	v_fmac_f32_e32 v30, 0x3f7d64f0, v23
	;; [unrolled: 1-line block ×3, first 2 shown]
	v_add_f32_e32 v14, v14, v32
	v_add_f32_e32 v30, v30, v34
	;; [unrolled: 1-line block ×3, first 2 shown]
	s_waitcnt lgkmcnt(0)
	s_barrier
	ds_write2_b32 v40, v44, v25 offset1:22
	ds_write2_b32 v40, v24, v26 offset0:44 offset1:66
	ds_write2_b32 v40, v27, v30 offset0:88 offset1:110
	;; [unrolled: 1-line block ×4, first 2 shown]
	ds_write_b32 v40, v21 offset:880
	s_waitcnt lgkmcnt(0)
	s_barrier
	ds_read2_b32 v[22:23], v1 offset1:242
	ds_read2_b32 v[24:25], v41 offset0:4 offset1:246
	ds_read2_b32 v[26:27], v42 offset0:8 offset1:250
	ds_read_b32 v31, v1 offset:5808
                                        ; implicit-def: $vgpr30
	s_and_saveexec_b64 s[4:5], s[2:3]
	s_cbranch_execz .LBB0_23
; %bb.22:
	v_add_u32_e32 v6, 0x240, v1
	ds_read2_b32 v[14:15], v6 offset0:10 offset1:252
	v_add_u32_e32 v6, 0x9e0, v1
	ds_read2_b32 v[20:21], v6 offset0:6 offset1:248
	;; [unrolled: 2-line block ×3, first 2 shown]
	ds_read_b32 v30, v1 offset:6424
.LBB0_23:
	s_or_b64 exec, exec, s[4:5]
	s_and_saveexec_b64 s[4:5], s[0:1]
	s_cbranch_execz .LBB0_26
; %bb.24:
	v_mul_u32_u24_e32 v1, 6, v0
	v_lshlrev_b32_e32 v1, 3, v1
	global_load_dwordx4 v[32:35], v1, s[8:9] offset:1848
	global_load_dwordx4 v[39:42], v1, s[8:9] offset:1880
	;; [unrolled: 1-line block ×3, first 2 shown]
	s_mov_b32 s4, 0xbf3bfb3b
	s_mov_b32 s5, 0x3f3bfb3b
	;; [unrolled: 1-line block ×4, first 2 shown]
	s_movk_i32 s6, 0x1000
	s_waitcnt vmcnt(2)
	v_mul_f32_e32 v1, v13, v32
	s_waitcnt vmcnt(1)
	v_mul_f32_e32 v36, v29, v41
	;; [unrolled: 2-line block ×3, first 2 shown]
	v_mul_f32_e32 v47, v17, v43
	v_mul_f32_e32 v48, v16, v34
	;; [unrolled: 1-line block ×9, first 2 shown]
	s_waitcnt lgkmcnt(3)
	v_fmac_f32_e32 v1, v23, v33
	s_waitcnt lgkmcnt(0)
	v_fmac_f32_e32 v36, v31, v42
	v_fmac_f32_e32 v37, v26, v46
	;; [unrolled: 1-line block ×5, first 2 shown]
	v_fma_f32 v29, v31, v41, -v29
	v_fma_f32 v13, v23, v32, -v13
	;; [unrolled: 1-line block ×6, first 2 shown]
	v_sub_f32_e32 v23, v1, v36
	v_sub_f32_e32 v24, v37, v47
	;; [unrolled: 1-line block ×3, first 2 shown]
	v_add_f32_e32 v26, v13, v29
	v_add_f32_e32 v27, v18, v17
	;; [unrolled: 1-line block ×6, first 2 shown]
	v_sub_f32_e32 v29, v13, v29
	v_sub_f32_e32 v13, v18, v17
	;; [unrolled: 1-line block ×3, first 2 shown]
	v_add_f32_e32 v19, v24, v25
	v_sub_f32_e32 v34, v27, v31
	v_add_f32_e32 v35, v26, v31
	v_sub_f32_e32 v37, v32, v33
	;; [unrolled: 2-line block ×3, first 2 shown]
	v_sub_f32_e32 v17, v24, v25
	v_sub_f32_e32 v36, v1, v32
	;; [unrolled: 1-line block ×4, first 2 shown]
	v_add_f32_e32 v13, v13, v18
	v_sub_f32_e32 v25, v25, v23
	v_add_f32_e32 v23, v23, v19
	v_mul_f32_e32 v34, 0x3d64c772, v34
	v_add_f32_e32 v19, v27, v35
	v_mul_f32_e32 v35, 0x3d64c772, v37
	v_add_f32_e32 v32, v32, v39
	v_sub_f32_e32 v24, v26, v27
	v_add_f32_e32 v39, v29, v13
	v_mov_b32_e32 v43, v34
	v_add_f32_e32 v13, v22, v19
	v_mov_b32_e32 v22, v35
	v_add_f32_e32 v12, v12, v32
	v_sub_f32_e32 v26, v31, v26
	v_mul_f32_e32 v31, 0x3f08b237, v17
	v_mul_f32_e32 v17, 0x3f4a47b2, v24
	;; [unrolled: 1-line block ×3, first 2 shown]
	v_fmac_f32_e32 v43, 0x3f4a47b2, v24
	v_mov_b32_e32 v24, v13
	v_fmac_f32_e32 v22, 0x3f4a47b2, v36
	v_mov_b32_e32 v36, v12
	v_fmac_f32_e32 v24, 0xbf955555, v19
	v_fmac_f32_e32 v36, 0xbf955555, v32
	v_sub_f32_e32 v1, v33, v1
	v_add_f32_e32 v32, v43, v24
	v_add_f32_e32 v43, v22, v36
	v_fma_f32 v22, v1, s4, -v27
	v_add_f32_e32 v33, v22, v36
	v_sub_f32_e32 v22, v18, v29
	v_mul_f32_e32 v37, 0x3f08b237, v41
	v_fma_f32 v45, v26, s4, -v17
	v_mul_f32_e32 v18, 0xbf5ff5aa, v22
	v_fma_f32 v26, v26, s5, -v34
	v_mul_f32_e32 v41, 0xbf5ff5aa, v25
	v_mov_b32_e32 v42, v31
	v_add_f32_e32 v45, v45, v24
	v_fma_f32 v29, v40, s0, -v18
	v_add_f32_e32 v24, v26, v24
	v_fma_f32 v25, v25, s1, -v31
	v_fma_f32 v26, v22, s1, -v37
	;; [unrolled: 1-line block ×4, first 2 shown]
	v_fmac_f32_e32 v42, 0xbeae86e6, v16
	v_fmac_f32_e32 v29, 0xbee1c552, v39
	;; [unrolled: 1-line block ×4, first 2 shown]
	v_add_f32_e32 v1, v1, v36
	v_fmac_f32_e32 v41, 0xbee1c552, v23
	v_fmac_f32_e32 v42, 0xbee1c552, v23
	v_sub_f32_e32 v18, v33, v29
	v_sub_f32_e32 v23, v24, v25
	v_add_f32_e32 v22, v26, v1
	v_add_f32_e32 v25, v25, v24
	v_sub_f32_e32 v24, v1, v26
	v_add_f32_e32 v26, v29, v33
	v_mov_b32_e32 v1, 0
	v_mov_b32_e32 v29, s13
	v_add_co_u32_e32 v33, vcc, s12, v2
	v_addc_co_u32_e32 v29, vcc, v29, v3, vcc
	v_lshlrev_b64 v[2:3], 3, v[0:1]
	v_mov_b32_e32 v44, v37
	v_fmac_f32_e32 v44, 0xbeae86e6, v40
	v_add_co_u32_e32 v2, vcc, v33, v2
	v_fmac_f32_e32 v44, 0xbee1c552, v39
	v_addc_co_u32_e32 v3, vcc, v29, v3, vcc
	v_add_f32_e32 v17, v42, v32
	v_sub_f32_e32 v27, v45, v41
	v_sub_f32_e32 v32, v32, v42
	v_add_f32_e32 v31, v44, v43
	global_store_dwordx2 v[2:3], v[12:13], off
	global_store_dwordx2 v[2:3], v[31:32], off offset:1936
	global_store_dwordx2 v[2:3], v[26:27], off offset:3872
	v_add_co_u32_e32 v12, vcc, s6, v2
	v_addc_co_u32_e32 v13, vcc, 0, v3, vcc
	global_store_dwordx2 v[12:13], v[24:25], off offset:1712
	global_store_dwordx2 v[12:13], v[22:23], off offset:3648
	v_add_co_u32_e32 v22, vcc, 0x2000, v2
	v_add_f32_e32 v19, v41, v45
	v_addc_co_u32_e32 v23, vcc, 0, v3, vcc
	v_sub_f32_e32 v16, v43, v44
	global_store_dwordx2 v[22:23], v[18:19], off offset:1488
	global_store_dwordx2 v[22:23], v[16:17], off offset:3424
	s_and_b64 exec, exec, s[2:3]
	s_cbranch_execz .LBB0_26
; %bb.25:
	v_add_u32_e32 v0, 0xffffffa8, v0
	v_cndmask_b32_e64 v0, v0, v38, s[2:3]
	v_mul_i32_i24_e32 v0, 6, v0
	v_lshlrev_b64 v[0:1], 3, v[0:1]
	v_mov_b32_e32 v16, s9
	v_add_co_u32_e32 v0, vcc, s8, v0
	v_addc_co_u32_e32 v1, vcc, v16, v1, vcc
	global_load_dwordx4 v[16:19], v[0:1], off offset:1848
	global_load_dwordx4 v[22:25], v[0:1], off offset:1864
	;; [unrolled: 1-line block ×3, first 2 shown]
	s_waitcnt vmcnt(2)
	v_mul_f32_e32 v0, v15, v17
	v_mul_f32_e32 v1, v9, v17
	v_mul_f32_e32 v17, v20, v19
	v_mul_f32_e32 v19, v10, v19
	s_waitcnt vmcnt(1)
	v_mul_f32_e32 v27, v6, v25
	v_mul_f32_e32 v25, v4, v25
	s_waitcnt vmcnt(0)
	v_mul_f32_e32 v29, v7, v32
	v_mul_f32_e32 v32, v5, v32
	;; [unrolled: 1-line block ×6, first 2 shown]
	v_fmac_f32_e32 v0, v9, v16
	v_fma_f32 v1, v15, v16, -v1
	v_fmac_f32_e32 v17, v10, v18
	v_fma_f32 v9, v20, v18, -v19
	v_fmac_f32_e32 v27, v4, v24
	v_fma_f32 v4, v6, v24, -v25
	v_fmac_f32_e32 v29, v5, v31
	v_fma_f32 v5, v7, v31, -v32
	v_fmac_f32_e32 v35, v28, v33
	v_fma_f32 v6, v30, v33, -v34
	v_fmac_f32_e32 v26, v11, v22
	v_fma_f32 v10, v21, v22, -v23
	v_add_f32_e32 v7, v0, v35
	v_add_f32_e32 v11, v1, v6
	v_sub_f32_e32 v1, v1, v6
	v_add_f32_e32 v6, v17, v29
	v_add_f32_e32 v15, v9, v5
	v_sub_f32_e32 v16, v17, v29
	v_sub_f32_e32 v5, v9, v5
	v_add_f32_e32 v9, v26, v27
	v_add_f32_e32 v17, v10, v4
	v_sub_f32_e32 v18, v27, v26
	;; [unrolled: 4-line block ×3, first 2 shown]
	v_sub_f32_e32 v20, v6, v7
	v_sub_f32_e32 v21, v15, v11
	;; [unrolled: 1-line block ×6, first 2 shown]
	v_add_f32_e32 v22, v18, v16
	v_add_f32_e32 v23, v4, v5
	v_sub_f32_e32 v24, v18, v16
	v_sub_f32_e32 v25, v4, v5
	;; [unrolled: 1-line block ×3, first 2 shown]
	v_add_f32_e32 v9, v9, v10
	v_add_f32_e32 v10, v17, v19
	v_sub_f32_e32 v18, v0, v18
	v_sub_f32_e32 v4, v1, v4
	v_sub_f32_e32 v16, v16, v0
	v_add_f32_e32 v17, v22, v0
	v_add_f32_e32 v19, v23, v1
	v_mul_f32_e32 v7, 0x3f4a47b2, v7
	v_mul_f32_e32 v11, 0x3f4a47b2, v11
	;; [unrolled: 1-line block ×7, first 2 shown]
	v_add_f32_e32 v0, v8, v9
	v_add_f32_e32 v1, v14, v10
	v_mul_f32_e32 v26, 0xbf5ff5aa, v16
	v_fma_f32 v8, v20, s5, -v22
	v_fma_f32 v14, v21, s5, -v23
	;; [unrolled: 1-line block ×3, first 2 shown]
	v_fmac_f32_e32 v7, 0x3d64c772, v6
	v_fma_f32 v6, v21, s4, -v11
	v_fmac_f32_e32 v11, 0x3d64c772, v15
	v_fma_f32 v15, v16, s1, -v24
	v_fma_f32 v16, v5, s1, -v25
	v_fmac_f32_e32 v25, 0xbeae86e6, v4
	v_fma_f32 v21, v4, s0, -v27
	v_mov_b32_e32 v4, v0
	v_mov_b32_e32 v5, v1
	v_fmac_f32_e32 v24, 0xbeae86e6, v18
	v_fma_f32 v18, v18, s0, -v26
	v_fmac_f32_e32 v4, 0xbf955555, v9
	v_fmac_f32_e32 v5, 0xbf955555, v10
	v_add_f32_e32 v22, v7, v4
	v_add_f32_e32 v23, v11, v5
	;; [unrolled: 1-line block ×6, first 2 shown]
	v_fmac_f32_e32 v24, 0xbee1c552, v17
	v_fmac_f32_e32 v25, 0xbee1c552, v19
	;; [unrolled: 1-line block ×6, first 2 shown]
	v_add_f32_e32 v4, v25, v22
	v_sub_f32_e32 v5, v23, v24
	v_add_f32_e32 v6, v21, v14
	v_sub_f32_e32 v7, v20, v18
	v_sub_f32_e32 v8, v10, v16
	v_add_f32_e32 v9, v15, v11
	global_store_dwordx2 v[2:3], v[0:1], off offset:1232
	global_store_dwordx2 v[2:3], v[4:5], off offset:3168
	;; [unrolled: 1-line block ×4, first 2 shown]
	v_add_co_u32_e32 v0, vcc, 0x2000, v2
	v_add_f32_e32 v10, v16, v10
	v_sub_f32_e32 v11, v11, v15
	v_addc_co_u32_e32 v1, vcc, 0, v3, vcc
	v_sub_f32_e32 v14, v14, v21
	v_add_f32_e32 v15, v18, v20
	global_store_dwordx2 v[0:1], v[10:11], off offset:784
	global_store_dwordx2 v[0:1], v[14:15], off offset:2720
	v_add_co_u32_e32 v0, vcc, 0x3000, v2
	v_sub_f32_e32 v16, v22, v25
	v_add_f32_e32 v17, v24, v23
	v_addc_co_u32_e32 v1, vcc, 0, v3, vcc
	global_store_dwordx2 v[0:1], v[16:17], off offset:560
.LBB0_26:
	s_endpgm
	.section	.rodata,"a",@progbits
	.p2align	6, 0x0
	.amdhsa_kernel fft_rtc_back_len1694_factors_11_2_11_7_wgs_154_tpt_154_halfLds_sp_ip_CI_unitstride_sbrr_dirReg
		.amdhsa_group_segment_fixed_size 0
		.amdhsa_private_segment_fixed_size 0
		.amdhsa_kernarg_size 88
		.amdhsa_user_sgpr_count 6
		.amdhsa_user_sgpr_private_segment_buffer 1
		.amdhsa_user_sgpr_dispatch_ptr 0
		.amdhsa_user_sgpr_queue_ptr 0
		.amdhsa_user_sgpr_kernarg_segment_ptr 1
		.amdhsa_user_sgpr_dispatch_id 0
		.amdhsa_user_sgpr_flat_scratch_init 0
		.amdhsa_user_sgpr_private_segment_size 0
		.amdhsa_uses_dynamic_stack 0
		.amdhsa_system_sgpr_private_segment_wavefront_offset 0
		.amdhsa_system_sgpr_workgroup_id_x 1
		.amdhsa_system_sgpr_workgroup_id_y 0
		.amdhsa_system_sgpr_workgroup_id_z 0
		.amdhsa_system_sgpr_workgroup_info 0
		.amdhsa_system_vgpr_workitem_id 0
		.amdhsa_next_free_vgpr 63
		.amdhsa_next_free_sgpr 22
		.amdhsa_reserve_vcc 1
		.amdhsa_reserve_flat_scratch 0
		.amdhsa_float_round_mode_32 0
		.amdhsa_float_round_mode_16_64 0
		.amdhsa_float_denorm_mode_32 3
		.amdhsa_float_denorm_mode_16_64 3
		.amdhsa_dx10_clamp 1
		.amdhsa_ieee_mode 1
		.amdhsa_fp16_overflow 0
		.amdhsa_exception_fp_ieee_invalid_op 0
		.amdhsa_exception_fp_denorm_src 0
		.amdhsa_exception_fp_ieee_div_zero 0
		.amdhsa_exception_fp_ieee_overflow 0
		.amdhsa_exception_fp_ieee_underflow 0
		.amdhsa_exception_fp_ieee_inexact 0
		.amdhsa_exception_int_div_zero 0
	.end_amdhsa_kernel
	.text
.Lfunc_end0:
	.size	fft_rtc_back_len1694_factors_11_2_11_7_wgs_154_tpt_154_halfLds_sp_ip_CI_unitstride_sbrr_dirReg, .Lfunc_end0-fft_rtc_back_len1694_factors_11_2_11_7_wgs_154_tpt_154_halfLds_sp_ip_CI_unitstride_sbrr_dirReg
                                        ; -- End function
	.section	.AMDGPU.csdata,"",@progbits
; Kernel info:
; codeLenInByte = 8668
; NumSgprs: 26
; NumVgprs: 63
; ScratchSize: 0
; MemoryBound: 0
; FloatMode: 240
; IeeeMode: 1
; LDSByteSize: 0 bytes/workgroup (compile time only)
; SGPRBlocks: 3
; VGPRBlocks: 15
; NumSGPRsForWavesPerEU: 26
; NumVGPRsForWavesPerEU: 63
; Occupancy: 4
; WaveLimiterHint : 1
; COMPUTE_PGM_RSRC2:SCRATCH_EN: 0
; COMPUTE_PGM_RSRC2:USER_SGPR: 6
; COMPUTE_PGM_RSRC2:TRAP_HANDLER: 0
; COMPUTE_PGM_RSRC2:TGID_X_EN: 1
; COMPUTE_PGM_RSRC2:TGID_Y_EN: 0
; COMPUTE_PGM_RSRC2:TGID_Z_EN: 0
; COMPUTE_PGM_RSRC2:TIDIG_COMP_CNT: 0
	.type	__hip_cuid_35cbc5217d5357e6,@object ; @__hip_cuid_35cbc5217d5357e6
	.section	.bss,"aw",@nobits
	.globl	__hip_cuid_35cbc5217d5357e6
__hip_cuid_35cbc5217d5357e6:
	.byte	0                               ; 0x0
	.size	__hip_cuid_35cbc5217d5357e6, 1

	.ident	"AMD clang version 19.0.0git (https://github.com/RadeonOpenCompute/llvm-project roc-6.4.0 25133 c7fe45cf4b819c5991fe208aaa96edf142730f1d)"
	.section	".note.GNU-stack","",@progbits
	.addrsig
	.addrsig_sym __hip_cuid_35cbc5217d5357e6
	.amdgpu_metadata
---
amdhsa.kernels:
  - .args:
      - .actual_access:  read_only
        .address_space:  global
        .offset:         0
        .size:           8
        .value_kind:     global_buffer
      - .offset:         8
        .size:           8
        .value_kind:     by_value
      - .actual_access:  read_only
        .address_space:  global
        .offset:         16
        .size:           8
        .value_kind:     global_buffer
      - .actual_access:  read_only
        .address_space:  global
        .offset:         24
        .size:           8
        .value_kind:     global_buffer
      - .offset:         32
        .size:           8
        .value_kind:     by_value
      - .actual_access:  read_only
        .address_space:  global
        .offset:         40
        .size:           8
        .value_kind:     global_buffer
      - .actual_access:  read_only
        .address_space:  global
        .offset:         48
        .size:           8
        .value_kind:     global_buffer
      - .offset:         56
        .size:           4
        .value_kind:     by_value
      - .actual_access:  read_only
        .address_space:  global
        .offset:         64
        .size:           8
        .value_kind:     global_buffer
      - .actual_access:  read_only
        .address_space:  global
        .offset:         72
        .size:           8
        .value_kind:     global_buffer
      - .address_space:  global
        .offset:         80
        .size:           8
        .value_kind:     global_buffer
    .group_segment_fixed_size: 0
    .kernarg_segment_align: 8
    .kernarg_segment_size: 88
    .language:       OpenCL C
    .language_version:
      - 2
      - 0
    .max_flat_workgroup_size: 154
    .name:           fft_rtc_back_len1694_factors_11_2_11_7_wgs_154_tpt_154_halfLds_sp_ip_CI_unitstride_sbrr_dirReg
    .private_segment_fixed_size: 0
    .sgpr_count:     26
    .sgpr_spill_count: 0
    .symbol:         fft_rtc_back_len1694_factors_11_2_11_7_wgs_154_tpt_154_halfLds_sp_ip_CI_unitstride_sbrr_dirReg.kd
    .uniform_work_group_size: 1
    .uses_dynamic_stack: false
    .vgpr_count:     63
    .vgpr_spill_count: 0
    .wavefront_size: 64
amdhsa.target:   amdgcn-amd-amdhsa--gfx906
amdhsa.version:
  - 1
  - 2
...

	.end_amdgpu_metadata
